;; amdgpu-corpus repo=ROCm/rocFFT kind=compiled arch=gfx1201 opt=O3
	.text
	.amdgcn_target "amdgcn-amd-amdhsa--gfx1201"
	.amdhsa_code_object_version 6
	.protected	fft_rtc_fwd_len528_factors_4_4_3_11_wgs_48_tpt_48_halfLds_sp_ip_CI_unitstride_sbrr_C2R_dirReg ; -- Begin function fft_rtc_fwd_len528_factors_4_4_3_11_wgs_48_tpt_48_halfLds_sp_ip_CI_unitstride_sbrr_C2R_dirReg
	.globl	fft_rtc_fwd_len528_factors_4_4_3_11_wgs_48_tpt_48_halfLds_sp_ip_CI_unitstride_sbrr_C2R_dirReg
	.p2align	8
	.type	fft_rtc_fwd_len528_factors_4_4_3_11_wgs_48_tpt_48_halfLds_sp_ip_CI_unitstride_sbrr_C2R_dirReg,@function
fft_rtc_fwd_len528_factors_4_4_3_11_wgs_48_tpt_48_halfLds_sp_ip_CI_unitstride_sbrr_C2R_dirReg: ; @fft_rtc_fwd_len528_factors_4_4_3_11_wgs_48_tpt_48_halfLds_sp_ip_CI_unitstride_sbrr_C2R_dirReg
; %bb.0:
	s_clause 0x2
	s_load_b128 s[4:7], s[0:1], 0x0
	s_load_b64 s[8:9], s[0:1], 0x50
	s_load_b64 s[10:11], s[0:1], 0x18
	v_mul_u32_u24_e32 v1, 0x556, v0
	v_mov_b32_e32 v3, 0
	s_delay_alu instid0(VALU_DEP_2) | instskip(NEXT) | instid1(VALU_DEP_1)
	v_lshrrev_b32_e32 v1, 16, v1
	v_add_nc_u32_e32 v5, ttmp9, v1
	v_mov_b32_e32 v1, 0
	v_mov_b32_e32 v2, 0
	;; [unrolled: 1-line block ×3, first 2 shown]
	s_wait_kmcnt 0x0
	v_cmp_lt_u64_e64 s2, s[6:7], 2
	s_delay_alu instid0(VALU_DEP_1)
	s_and_b32 vcc_lo, exec_lo, s2
	s_cbranch_vccnz .LBB0_8
; %bb.1:
	s_load_b64 s[2:3], s[0:1], 0x10
	v_mov_b32_e32 v1, 0
	v_mov_b32_e32 v2, 0
	s_add_nc_u64 s[12:13], s[10:11], 8
	s_mov_b64 s[14:15], 1
	s_wait_kmcnt 0x0
	s_add_nc_u64 s[16:17], s[2:3], 8
	s_mov_b32 s3, 0
.LBB0_2:                                ; =>This Inner Loop Header: Depth=1
	s_load_b64 s[18:19], s[16:17], 0x0
                                        ; implicit-def: $vgpr7_vgpr8
	s_mov_b32 s2, exec_lo
	s_wait_kmcnt 0x0
	v_or_b32_e32 v4, s19, v6
	s_delay_alu instid0(VALU_DEP_1)
	v_cmpx_ne_u64_e32 0, v[3:4]
	s_wait_alu 0xfffe
	s_xor_b32 s20, exec_lo, s2
	s_cbranch_execz .LBB0_4
; %bb.3:                                ;   in Loop: Header=BB0_2 Depth=1
	s_cvt_f32_u32 s2, s18
	s_cvt_f32_u32 s21, s19
	s_sub_nc_u64 s[24:25], 0, s[18:19]
	s_wait_alu 0xfffe
	s_delay_alu instid0(SALU_CYCLE_1) | instskip(SKIP_1) | instid1(SALU_CYCLE_2)
	s_fmamk_f32 s2, s21, 0x4f800000, s2
	s_wait_alu 0xfffe
	v_s_rcp_f32 s2, s2
	s_delay_alu instid0(TRANS32_DEP_1) | instskip(SKIP_1) | instid1(SALU_CYCLE_2)
	s_mul_f32 s2, s2, 0x5f7ffffc
	s_wait_alu 0xfffe
	s_mul_f32 s21, s2, 0x2f800000
	s_wait_alu 0xfffe
	s_delay_alu instid0(SALU_CYCLE_2) | instskip(SKIP_1) | instid1(SALU_CYCLE_2)
	s_trunc_f32 s21, s21
	s_wait_alu 0xfffe
	s_fmamk_f32 s2, s21, 0xcf800000, s2
	s_cvt_u32_f32 s23, s21
	s_wait_alu 0xfffe
	s_delay_alu instid0(SALU_CYCLE_1) | instskip(SKIP_1) | instid1(SALU_CYCLE_2)
	s_cvt_u32_f32 s22, s2
	s_wait_alu 0xfffe
	s_mul_u64 s[26:27], s[24:25], s[22:23]
	s_wait_alu 0xfffe
	s_mul_hi_u32 s29, s22, s27
	s_mul_i32 s28, s22, s27
	s_mul_hi_u32 s2, s22, s26
	s_mul_i32 s30, s23, s26
	s_wait_alu 0xfffe
	s_add_nc_u64 s[28:29], s[2:3], s[28:29]
	s_mul_hi_u32 s21, s23, s26
	s_mul_hi_u32 s31, s23, s27
	s_add_co_u32 s2, s28, s30
	s_wait_alu 0xfffe
	s_add_co_ci_u32 s2, s29, s21
	s_mul_i32 s26, s23, s27
	s_add_co_ci_u32 s27, s31, 0
	s_wait_alu 0xfffe
	s_add_nc_u64 s[26:27], s[2:3], s[26:27]
	s_wait_alu 0xfffe
	v_add_co_u32 v4, s2, s22, s26
	s_delay_alu instid0(VALU_DEP_1) | instskip(SKIP_1) | instid1(VALU_DEP_1)
	s_cmp_lg_u32 s2, 0
	s_add_co_ci_u32 s23, s23, s27
	v_readfirstlane_b32 s22, v4
	s_wait_alu 0xfffe
	s_delay_alu instid0(VALU_DEP_1)
	s_mul_u64 s[24:25], s[24:25], s[22:23]
	s_wait_alu 0xfffe
	s_mul_hi_u32 s27, s22, s25
	s_mul_i32 s26, s22, s25
	s_mul_hi_u32 s2, s22, s24
	s_mul_i32 s28, s23, s24
	s_wait_alu 0xfffe
	s_add_nc_u64 s[26:27], s[2:3], s[26:27]
	s_mul_hi_u32 s21, s23, s24
	s_mul_hi_u32 s22, s23, s25
	s_wait_alu 0xfffe
	s_add_co_u32 s2, s26, s28
	s_add_co_ci_u32 s2, s27, s21
	s_mul_i32 s24, s23, s25
	s_add_co_ci_u32 s25, s22, 0
	s_wait_alu 0xfffe
	s_add_nc_u64 s[24:25], s[2:3], s[24:25]
	s_wait_alu 0xfffe
	v_add_co_u32 v4, s2, v4, s24
	s_delay_alu instid0(VALU_DEP_1) | instskip(SKIP_1) | instid1(VALU_DEP_1)
	s_cmp_lg_u32 s2, 0
	s_add_co_ci_u32 s2, s23, s25
	v_mul_hi_u32 v13, v5, v4
	s_wait_alu 0xfffe
	v_mad_co_u64_u32 v[7:8], null, v5, s2, 0
	v_mad_co_u64_u32 v[9:10], null, v6, v4, 0
	;; [unrolled: 1-line block ×3, first 2 shown]
	s_delay_alu instid0(VALU_DEP_3) | instskip(SKIP_1) | instid1(VALU_DEP_4)
	v_add_co_u32 v4, vcc_lo, v13, v7
	s_wait_alu 0xfffd
	v_add_co_ci_u32_e32 v7, vcc_lo, 0, v8, vcc_lo
	s_delay_alu instid0(VALU_DEP_2) | instskip(SKIP_1) | instid1(VALU_DEP_2)
	v_add_co_u32 v4, vcc_lo, v4, v9
	s_wait_alu 0xfffd
	v_add_co_ci_u32_e32 v4, vcc_lo, v7, v10, vcc_lo
	s_wait_alu 0xfffd
	v_add_co_ci_u32_e32 v7, vcc_lo, 0, v12, vcc_lo
	s_delay_alu instid0(VALU_DEP_2) | instskip(SKIP_1) | instid1(VALU_DEP_2)
	v_add_co_u32 v4, vcc_lo, v4, v11
	s_wait_alu 0xfffd
	v_add_co_ci_u32_e32 v9, vcc_lo, 0, v7, vcc_lo
	s_delay_alu instid0(VALU_DEP_2) | instskip(SKIP_1) | instid1(VALU_DEP_3)
	v_mul_lo_u32 v10, s19, v4
	v_mad_co_u64_u32 v[7:8], null, s18, v4, 0
	v_mul_lo_u32 v11, s18, v9
	s_delay_alu instid0(VALU_DEP_2) | instskip(NEXT) | instid1(VALU_DEP_2)
	v_sub_co_u32 v7, vcc_lo, v5, v7
	v_add3_u32 v8, v8, v11, v10
	s_delay_alu instid0(VALU_DEP_1) | instskip(SKIP_1) | instid1(VALU_DEP_1)
	v_sub_nc_u32_e32 v10, v6, v8
	s_wait_alu 0xfffd
	v_subrev_co_ci_u32_e64 v10, s2, s19, v10, vcc_lo
	v_add_co_u32 v11, s2, v4, 2
	s_wait_alu 0xf1ff
	v_add_co_ci_u32_e64 v12, s2, 0, v9, s2
	v_sub_co_u32 v13, s2, v7, s18
	v_sub_co_ci_u32_e32 v8, vcc_lo, v6, v8, vcc_lo
	s_wait_alu 0xf1ff
	v_subrev_co_ci_u32_e64 v10, s2, 0, v10, s2
	s_delay_alu instid0(VALU_DEP_3) | instskip(NEXT) | instid1(VALU_DEP_3)
	v_cmp_le_u32_e32 vcc_lo, s18, v13
	v_cmp_eq_u32_e64 s2, s19, v8
	s_wait_alu 0xfffd
	v_cndmask_b32_e64 v13, 0, -1, vcc_lo
	v_cmp_le_u32_e32 vcc_lo, s19, v10
	s_wait_alu 0xfffd
	v_cndmask_b32_e64 v14, 0, -1, vcc_lo
	v_cmp_le_u32_e32 vcc_lo, s18, v7
	;; [unrolled: 3-line block ×3, first 2 shown]
	s_wait_alu 0xfffd
	v_cndmask_b32_e64 v15, 0, -1, vcc_lo
	v_cmp_eq_u32_e32 vcc_lo, s19, v10
	s_wait_alu 0xf1ff
	s_delay_alu instid0(VALU_DEP_2)
	v_cndmask_b32_e64 v7, v15, v7, s2
	s_wait_alu 0xfffd
	v_cndmask_b32_e32 v10, v14, v13, vcc_lo
	v_add_co_u32 v13, vcc_lo, v4, 1
	s_wait_alu 0xfffd
	v_add_co_ci_u32_e32 v14, vcc_lo, 0, v9, vcc_lo
	s_delay_alu instid0(VALU_DEP_3) | instskip(SKIP_2) | instid1(VALU_DEP_3)
	v_cmp_ne_u32_e32 vcc_lo, 0, v10
	s_wait_alu 0xfffd
	v_cndmask_b32_e32 v10, v13, v11, vcc_lo
	v_cndmask_b32_e32 v8, v14, v12, vcc_lo
	v_cmp_ne_u32_e32 vcc_lo, 0, v7
	s_wait_alu 0xfffd
	s_delay_alu instid0(VALU_DEP_2)
	v_dual_cndmask_b32 v7, v4, v10 :: v_dual_cndmask_b32 v8, v9, v8
.LBB0_4:                                ;   in Loop: Header=BB0_2 Depth=1
	s_wait_alu 0xfffe
	s_and_not1_saveexec_b32 s2, s20
	s_cbranch_execz .LBB0_6
; %bb.5:                                ;   in Loop: Header=BB0_2 Depth=1
	v_cvt_f32_u32_e32 v4, s18
	s_sub_co_i32 s20, 0, s18
	s_delay_alu instid0(VALU_DEP_1) | instskip(NEXT) | instid1(TRANS32_DEP_1)
	v_rcp_iflag_f32_e32 v4, v4
	v_mul_f32_e32 v4, 0x4f7ffffe, v4
	s_delay_alu instid0(VALU_DEP_1) | instskip(SKIP_1) | instid1(VALU_DEP_1)
	v_cvt_u32_f32_e32 v4, v4
	s_wait_alu 0xfffe
	v_mul_lo_u32 v7, s20, v4
	s_delay_alu instid0(VALU_DEP_1) | instskip(NEXT) | instid1(VALU_DEP_1)
	v_mul_hi_u32 v7, v4, v7
	v_add_nc_u32_e32 v4, v4, v7
	s_delay_alu instid0(VALU_DEP_1) | instskip(NEXT) | instid1(VALU_DEP_1)
	v_mul_hi_u32 v4, v5, v4
	v_mul_lo_u32 v7, v4, s18
	v_add_nc_u32_e32 v8, 1, v4
	s_delay_alu instid0(VALU_DEP_2) | instskip(NEXT) | instid1(VALU_DEP_1)
	v_sub_nc_u32_e32 v7, v5, v7
	v_subrev_nc_u32_e32 v9, s18, v7
	v_cmp_le_u32_e32 vcc_lo, s18, v7
	s_wait_alu 0xfffd
	s_delay_alu instid0(VALU_DEP_2) | instskip(NEXT) | instid1(VALU_DEP_1)
	v_dual_cndmask_b32 v7, v7, v9 :: v_dual_cndmask_b32 v4, v4, v8
	v_cmp_le_u32_e32 vcc_lo, s18, v7
	s_delay_alu instid0(VALU_DEP_2) | instskip(SKIP_1) | instid1(VALU_DEP_1)
	v_add_nc_u32_e32 v8, 1, v4
	s_wait_alu 0xfffd
	v_dual_cndmask_b32 v7, v4, v8 :: v_dual_mov_b32 v8, v3
.LBB0_6:                                ;   in Loop: Header=BB0_2 Depth=1
	s_wait_alu 0xfffe
	s_or_b32 exec_lo, exec_lo, s2
	s_load_b64 s[20:21], s[12:13], 0x0
	s_delay_alu instid0(VALU_DEP_1)
	v_mul_lo_u32 v4, v8, s18
	v_mul_lo_u32 v11, v7, s19
	v_mad_co_u64_u32 v[9:10], null, v7, s18, 0
	s_add_nc_u64 s[14:15], s[14:15], 1
	s_add_nc_u64 s[12:13], s[12:13], 8
	s_wait_alu 0xfffe
	v_cmp_ge_u64_e64 s2, s[14:15], s[6:7]
	s_add_nc_u64 s[16:17], s[16:17], 8
	s_delay_alu instid0(VALU_DEP_2) | instskip(NEXT) | instid1(VALU_DEP_3)
	v_add3_u32 v4, v10, v11, v4
	v_sub_co_u32 v5, vcc_lo, v5, v9
	s_wait_alu 0xfffd
	s_delay_alu instid0(VALU_DEP_2) | instskip(SKIP_3) | instid1(VALU_DEP_2)
	v_sub_co_ci_u32_e32 v4, vcc_lo, v6, v4, vcc_lo
	s_and_b32 vcc_lo, exec_lo, s2
	s_wait_kmcnt 0x0
	v_mul_lo_u32 v6, s21, v5
	v_mul_lo_u32 v4, s20, v4
	v_mad_co_u64_u32 v[1:2], null, s20, v5, v[1:2]
	s_delay_alu instid0(VALU_DEP_1)
	v_add3_u32 v2, v6, v2, v4
	s_wait_alu 0xfffe
	s_cbranch_vccnz .LBB0_9
; %bb.7:                                ;   in Loop: Header=BB0_2 Depth=1
	v_dual_mov_b32 v5, v7 :: v_dual_mov_b32 v6, v8
	s_branch .LBB0_2
.LBB0_8:
	v_dual_mov_b32 v8, v6 :: v_dual_mov_b32 v7, v5
.LBB0_9:
	s_lshl_b64 s[2:3], s[6:7], 3
	v_mul_hi_u32 v5, 0x5555556, v0
	s_wait_alu 0xfffe
	s_add_nc_u64 s[2:3], s[10:11], s[2:3]
	s_load_b64 s[2:3], s[2:3], 0x0
	s_load_b64 s[0:1], s[0:1], 0x20
	s_wait_kmcnt 0x0
	v_mul_lo_u32 v3, s2, v8
	v_mul_lo_u32 v4, s3, v7
	v_mad_co_u64_u32 v[1:2], null, s2, v7, v[1:2]
	v_cmp_gt_u64_e32 vcc_lo, s[0:1], v[7:8]
	s_delay_alu instid0(VALU_DEP_2) | instskip(SKIP_1) | instid1(VALU_DEP_2)
	v_add3_u32 v2, v4, v2, v3
	v_mul_u32_u24_e32 v3, 48, v5
	v_lshlrev_b64_e32 v[42:43], 3, v[1:2]
	s_delay_alu instid0(VALU_DEP_2)
	v_sub_nc_u32_e32 v40, v0, v3
	s_and_saveexec_b32 s1, vcc_lo
	s_cbranch_execz .LBB0_13
; %bb.10:
	v_mov_b32_e32 v41, 0
	s_delay_alu instid0(VALU_DEP_3) | instskip(SKIP_2) | instid1(VALU_DEP_3)
	v_add_co_u32 v0, s0, s8, v42
	s_wait_alu 0xf1ff
	v_add_co_ci_u32_e64 v1, s0, s9, v43, s0
	v_lshlrev_b64_e32 v[2:3], 3, v[40:41]
	v_lshl_add_u32 v24, v40, 3, 0
	s_mov_b32 s2, exec_lo
	s_delay_alu instid0(VALU_DEP_1) | instskip(NEXT) | instid1(VALU_DEP_3)
	v_add_nc_u32_e32 v25, 0x800, v24
	v_add_co_u32 v2, s0, v0, v2
	s_wait_alu 0xf1ff
	v_add_co_ci_u32_e64 v3, s0, v1, v3, s0
	s_clause 0xa
	global_load_b64 v[4:5], v[2:3], off
	global_load_b64 v[6:7], v[2:3], off offset:384
	global_load_b64 v[8:9], v[2:3], off offset:768
	;; [unrolled: 1-line block ×10, first 2 shown]
	s_wait_loadcnt 0x9
	ds_store_2addr_b64 v24, v[4:5], v[6:7] offset1:48
	s_wait_loadcnt 0x7
	ds_store_2addr_b64 v24, v[8:9], v[10:11] offset0:96 offset1:144
	s_wait_loadcnt 0x5
	ds_store_2addr_b64 v24, v[12:13], v[14:15] offset0:192 offset1:240
	;; [unrolled: 2-line block ×4, first 2 shown]
	s_wait_loadcnt 0x0
	ds_store_b64 v24, v[2:3] offset:3840
	v_cmpx_eq_u32_e32 47, v40
	s_cbranch_execz .LBB0_12
; %bb.11:
	global_load_b64 v[0:1], v[0:1], off offset:4224
	v_mov_b32_e32 v40, 47
	s_wait_loadcnt 0x0
	ds_store_b64 v41, v[0:1] offset:4224
.LBB0_12:
	s_wait_alu 0xfffe
	s_or_b32 exec_lo, exec_lo, s2
.LBB0_13:
	s_wait_alu 0xfffe
	s_or_b32 exec_lo, exec_lo, s1
	v_lshlrev_b32_e32 v0, 3, v40
	global_wb scope:SCOPE_SE
	s_wait_dscnt 0x0
	s_barrier_signal -1
	s_barrier_wait -1
	global_inv scope:SCOPE_SE
	v_add_nc_u32_e32 v46, 0, v0
	v_sub_nc_u32_e32 v4, 0, v0
	s_mov_b32 s1, exec_lo
	ds_load_b32 v1, v46
	ds_load_b32 v2, v4 offset:4224
	s_wait_dscnt 0x0
	v_dual_add_f32 v0, v2, v1 :: v_dual_sub_f32 v1, v1, v2
                                        ; implicit-def: $vgpr2_vgpr3
	v_cmpx_ne_u32_e32 0, v40
	s_wait_alu 0xfffe
	s_xor_b32 s1, exec_lo, s1
	s_cbranch_execz .LBB0_15
; %bb.14:
	v_mov_b32_e32 v41, 0
	s_delay_alu instid0(VALU_DEP_1) | instskip(NEXT) | instid1(VALU_DEP_1)
	v_lshlrev_b64_e32 v[2:3], 3, v[40:41]
	v_add_co_u32 v2, s0, s4, v2
	s_wait_alu 0xf1ff
	s_delay_alu instid0(VALU_DEP_2)
	v_add_co_ci_u32_e64 v3, s0, s5, v3, s0
	global_load_b64 v[2:3], v[2:3], off offset:4192
	ds_load_b32 v5, v4 offset:4228
	ds_load_b32 v6, v46 offset:4
	s_wait_dscnt 0x0
	v_add_f32_e32 v9, v5, v6
	v_sub_f32_e32 v5, v6, v5
	s_wait_loadcnt 0x0
	s_delay_alu instid0(VALU_DEP_1) | instskip(SKIP_2) | instid1(VALU_DEP_3)
	v_fma_f32 v8, v9, v3, -v5
	v_fma_f32 v10, v1, v3, v0
	v_fma_f32 v7, -v1, v3, v0
                                        ; implicit-def: $vgpr0
	v_fmac_f32_e32 v8, v1, v2
	v_fma_f32 v6, v9, v3, v5
	s_delay_alu instid0(VALU_DEP_4) | instskip(NEXT) | instid1(VALU_DEP_2)
	v_fma_f32 v5, -v2, v9, v10
	v_dual_fmac_f32 v7, v2, v9 :: v_dual_fmac_f32 v6, v1, v2
	v_dual_mov_b32 v2, v40 :: v_dual_mov_b32 v3, v41
	ds_store_b64 v46, v[5:6]
	ds_store_b64 v4, v[7:8] offset:4224
.LBB0_15:
	s_wait_alu 0xfffe
	s_and_not1_saveexec_b32 s0, s1
	s_cbranch_execz .LBB0_17
; %bb.16:
	v_mov_b32_e32 v5, 0
	ds_store_b64 v46, v[0:1]
	v_mov_b32_e32 v2, 0
	v_mov_b32_e32 v3, 0
	ds_load_b64 v[0:1], v5 offset:2112
	s_wait_dscnt 0x0
	v_dual_add_f32 v0, v0, v0 :: v_dual_mul_f32 v1, -2.0, v1
	ds_store_b64 v5, v[0:1] offset:2112
.LBB0_17:
	s_wait_alu 0xfffe
	s_or_b32 exec_lo, exec_lo, s0
	v_lshlrev_b64_e32 v[0:1], 3, v[2:3]
	s_add_nc_u64 s[0:1], s[4:5], 0x1060
	s_wait_alu 0xfffe
	s_delay_alu instid0(VALU_DEP_1) | instskip(SKIP_1) | instid1(VALU_DEP_2)
	v_add_co_u32 v0, s0, s0, v0
	s_wait_alu 0xf1ff
	v_add_co_ci_u32_e64 v1, s0, s1, v1, s0
	s_mov_b32 s1, exec_lo
	s_clause 0x3
	global_load_b64 v[2:3], v[0:1], off offset:384
	global_load_b64 v[5:6], v[0:1], off offset:768
	global_load_b64 v[7:8], v[0:1], off offset:1152
	global_load_b64 v[9:10], v[0:1], off offset:1536
	ds_load_b64 v[11:12], v46 offset:384
	ds_load_b64 v[13:14], v4 offset:3840
	s_wait_dscnt 0x0
	v_dual_add_f32 v15, v11, v13 :: v_dual_add_f32 v16, v14, v12
	v_sub_f32_e32 v17, v11, v13
	v_sub_f32_e32 v11, v12, v14
	s_wait_loadcnt 0x3
	s_delay_alu instid0(VALU_DEP_2) | instskip(NEXT) | instid1(VALU_DEP_2)
	v_fma_f32 v18, v17, v3, v15
	v_fma_f32 v12, v16, v3, v11
	v_fma_f32 v13, -v17, v3, v15
	v_fma_f32 v14, v16, v3, -v11
	s_delay_alu instid0(VALU_DEP_4) | instskip(NEXT) | instid1(VALU_DEP_3)
	v_fma_f32 v11, -v2, v16, v18
	v_dual_fmac_f32 v12, v17, v2 :: v_dual_fmac_f32 v13, v2, v16
	s_delay_alu instid0(VALU_DEP_3)
	v_fmac_f32_e32 v14, v17, v2
	ds_store_b64 v46, v[11:12] offset:384
	ds_store_b64 v4, v[13:14] offset:3840
	ds_load_b64 v[2:3], v46 offset:768
	ds_load_b64 v[11:12], v4 offset:3456
	s_wait_dscnt 0x0
	v_add_f32_e32 v13, v2, v11
	v_add_f32_e32 v14, v12, v3
	v_dual_sub_f32 v15, v2, v11 :: v_dual_sub_f32 v2, v3, v12
	s_wait_loadcnt 0x2
	s_delay_alu instid0(VALU_DEP_1) | instskip(NEXT) | instid1(VALU_DEP_2)
	v_fma_f32 v16, v15, v6, v13
	v_fma_f32 v3, v14, v6, v2
	v_fma_f32 v11, -v15, v6, v13
	v_fma_f32 v12, v14, v6, -v2
	s_delay_alu instid0(VALU_DEP_4) | instskip(NEXT) | instid1(VALU_DEP_4)
	v_fma_f32 v2, -v5, v14, v16
	v_fmac_f32_e32 v3, v15, v5
	s_delay_alu instid0(VALU_DEP_3)
	v_dual_fmac_f32 v11, v5, v14 :: v_dual_fmac_f32 v12, v15, v5
	ds_store_b64 v46, v[2:3] offset:768
	ds_store_b64 v4, v[11:12] offset:3456
	ds_load_b64 v[2:3], v46 offset:1152
	ds_load_b64 v[5:6], v4 offset:3072
	s_wait_dscnt 0x0
	v_add_f32_e32 v11, v2, v5
	v_add_f32_e32 v12, v6, v3
	v_dual_sub_f32 v13, v2, v5 :: v_dual_sub_f32 v2, v3, v6
	s_wait_loadcnt 0x1
	s_delay_alu instid0(VALU_DEP_1) | instskip(NEXT) | instid1(VALU_DEP_2)
	v_fma_f32 v14, v13, v8, v11
	v_fma_f32 v3, v12, v8, v2
	v_fma_f32 v5, -v13, v8, v11
	v_fma_f32 v6, v12, v8, -v2
	s_delay_alu instid0(VALU_DEP_4) | instskip(NEXT) | instid1(VALU_DEP_4)
	v_fma_f32 v2, -v7, v12, v14
	v_fmac_f32_e32 v3, v13, v7
	s_delay_alu instid0(VALU_DEP_3)
	v_dual_fmac_f32 v5, v7, v12 :: v_dual_fmac_f32 v6, v13, v7
	;; [unrolled: 19-line block ×3, first 2 shown]
	ds_store_b64 v46, v[2:3] offset:1536
	ds_store_b64 v4, v[5:6] offset:2688
	v_cmpx_gt_u32_e32 24, v40
	s_cbranch_execz .LBB0_19
; %bb.18:
	global_load_b64 v[0:1], v[0:1], off offset:1920
	ds_load_b64 v[2:3], v46 offset:1920
	ds_load_b64 v[5:6], v4 offset:2304
	s_wait_dscnt 0x0
	v_dual_add_f32 v8, v6, v3 :: v_dual_sub_f32 v3, v3, v6
	v_sub_f32_e32 v9, v2, v5
	v_add_f32_e32 v7, v2, v5
	s_wait_loadcnt 0x0
	s_delay_alu instid0(VALU_DEP_3) | instskip(SKIP_1) | instid1(VALU_DEP_2)
	v_fma_f32 v2, v8, v1, v3
	v_fma_f32 v6, v8, v1, -v3
	v_fmac_f32_e32 v2, v9, v0
	v_fma_f32 v10, v9, v1, v7
	v_fma_f32 v5, -v9, v1, v7
	s_delay_alu instid0(VALU_DEP_4) | instskip(NEXT) | instid1(VALU_DEP_3)
	v_fmac_f32_e32 v6, v9, v0
	v_fma_f32 v1, -v0, v8, v10
	s_delay_alu instid0(VALU_DEP_3)
	v_fmac_f32_e32 v5, v0, v8
	ds_store_b64 v46, v[1:2] offset:1920
	ds_store_b64 v4, v[5:6] offset:2304
.LBB0_19:
	s_wait_alu 0xfffe
	s_or_b32 exec_lo, exec_lo, s1
	v_add_nc_u32_e32 v20, 0x800, v46
	global_wb scope:SCOPE_SE
	s_wait_dscnt 0x0
	s_barrier_signal -1
	s_barrier_wait -1
	global_inv scope:SCOPE_SE
	global_wb scope:SCOPE_SE
	s_barrier_signal -1
	s_barrier_wait -1
	global_inv scope:SCOPE_SE
	ds_load_2addr_b64 v[0:3], v46 offset1:48
	ds_load_2addr_b64 v[4:7], v20 offset0:8 offset1:56
	ds_load_2addr_b64 v[8:11], v46 offset0:96 offset1:132
	;; [unrolled: 1-line block ×5, first 2 shown]
	v_add_nc_u32_e32 v29, 48, v40
	v_add_nc_u32_e32 v28, 0x60, v40
	v_cmp_gt_u32_e64 s0, 36, v40
	global_wb scope:SCOPE_SE
	s_wait_dscnt 0x0
	s_barrier_signal -1
	s_barrier_wait -1
	global_inv scope:SCOPE_SE
	v_dual_sub_f32 v4, v0, v4 :: v_dual_sub_f32 v27, v3, v7
	v_dual_sub_f32 v5, v1, v5 :: v_dual_sub_f32 v14, v10, v14
	;; [unrolled: 1-line block ×3, first 2 shown]
	v_sub_f32_e32 v7, v16, v21
	v_sub_f32_e32 v31, v17, v22
	v_fma_f32 v0, v0, 2.0, -v4
	v_fma_f32 v1, v1, 2.0, -v5
	;; [unrolled: 1-line block ×3, first 2 shown]
	v_sub_f32_e32 v10, v4, v15
	v_fma_f32 v22, v11, 2.0, -v15
	v_fma_f32 v2, v2, 2.0, -v6
	;; [unrolled: 1-line block ×3, first 2 shown]
	v_dual_add_f32 v11, v5, v14 :: v_dual_sub_f32 v14, v0, v21
	v_fma_f32 v3, v3, 2.0, -v27
	v_sub_f32_e32 v15, v1, v22
	v_fma_f32 v22, v17, 2.0, -v31
	v_sub_f32_e32 v21, v2, v25
	v_sub_f32_e32 v32, v9, v13
	v_fma_f32 v25, v0, 2.0, -v14
	v_fma_f32 v17, v5, 2.0, -v11
	v_sub_f32_e32 v22, v3, v22
	v_fma_f32 v30, v2, 2.0, -v21
	v_sub_f32_e32 v2, v8, v12
	;; [unrolled: 2-line block ×3, first 2 shown]
	v_fma_f32 v24, v9, 2.0, -v32
	v_fma_f32 v16, v4, 2.0, -v10
	v_add_f32_e32 v13, v27, v7
	s_delay_alu instid0(VALU_DEP_4) | instskip(SKIP_3) | instid1(VALU_DEP_4)
	v_fma_f32 v5, v19, 2.0, -v1
	v_sub_f32_e32 v0, v18, v23
	v_fma_f32 v23, v8, 2.0, -v2
	v_lshl_add_u32 v19, v29, 5, 0
	v_dual_sub_f32 v5, v24, v5 :: v_dual_sub_f32 v12, v6, v31
	s_delay_alu instid0(VALU_DEP_4)
	v_add_f32_e32 v7, v32, v0
	v_fma_f32 v4, v18, 2.0, -v0
	v_fma_f32 v31, v3, 2.0, -v22
	v_mad_u32_u24 v18, v40, 24, v46
	v_fma_f32 v8, v6, 2.0, -v12
	v_sub_f32_e32 v6, v2, v1
	v_sub_f32_e32 v4, v23, v4
	v_fma_f32 v1, v24, 2.0, -v5
	v_fma_f32 v3, v32, 2.0, -v7
	;; [unrolled: 1-line block ×5, first 2 shown]
	ds_store_2addr_b64 v18, v[25:26], v[16:17] offset1:1
	ds_store_2addr_b64 v18, v[14:15], v[10:11] offset0:2 offset1:3
	ds_store_2addr_b64 v19, v[30:31], v[8:9] offset1:1
	ds_store_2addr_b64 v19, v[21:22], v[12:13] offset0:2 offset1:3
	s_and_saveexec_b32 s1, s0
	s_cbranch_execz .LBB0_21
; %bb.20:
	v_lshl_add_u32 v8, v28, 5, 0
	ds_store_2addr_b64 v8, v[0:1], v[2:3] offset1:1
	ds_store_2addr_b64 v8, v[4:5], v[6:7] offset0:2 offset1:3
.LBB0_21:
	s_wait_alu 0xfffe
	s_or_b32 exec_lo, exec_lo, s1
	global_wb scope:SCOPE_SE
	s_wait_dscnt 0x0
	s_barrier_signal -1
	s_barrier_wait -1
	global_inv scope:SCOPE_SE
	ds_load_2addr_b64 v[8:11], v46 offset1:48
	ds_load_2addr_b64 v[12:15], v46 offset0:132 offset1:180
	ds_load_2addr_b64 v[16:19], v20 offset0:8 offset1:56
	;; [unrolled: 1-line block ×3, first 2 shown]
	v_lshlrev_b32_e32 v24, 2, v29
	s_and_saveexec_b32 s1, s0
	s_cbranch_execz .LBB0_23
; %bb.22:
	v_add_nc_u32_e32 v4, 0x800, v46
	ds_load_2addr_b64 v[0:3], v46 offset0:96 offset1:228
	ds_load_2addr_b64 v[4:7], v4 offset0:104 offset1:236
.LBB0_23:
	s_wait_alu 0xfffe
	s_or_b32 exec_lo, exec_lo, s1
	v_and_b32_e32 v26, 3, v40
	s_delay_alu instid0(VALU_DEP_1) | instskip(NEXT) | instid1(VALU_DEP_1)
	v_mul_u32_u24_e32 v25, 3, v26
	v_lshlrev_b32_e32 v25, 3, v25
	s_clause 0x1
	global_load_b128 v[30:33], v25, s[4:5]
	global_load_b64 v[34:35], v25, s[4:5] offset:16
	v_lshlrev_b32_e32 v25, 2, v40
	global_wb scope:SCOPE_SE
	s_wait_loadcnt_dscnt 0x0
	s_barrier_signal -1
	s_barrier_wait -1
	global_inv scope:SCOPE_SE
	v_mul_f32_e32 v37, v33, v17
	v_and_or_b32 v24, 0x1f0, v24, v26
	v_mul_f32_e32 v38, v33, v16
	v_mul_f32_e32 v44, v31, v15
	;; [unrolled: 1-line block ×3, first 2 shown]
	v_dual_mul_f32 v47, v33, v19 :: v_dual_mul_f32 v50, v35, v22
	v_lshl_add_u32 v36, v24, 3, 0
	v_mul_f32_e32 v24, v31, v13
	v_and_or_b32 v25, 0xf0, v25, v26
	v_dual_mul_f32 v48, v33, v18 :: v_dual_mul_f32 v39, v35, v21
	v_dual_fmac_f32 v38, v32, v17 :: v_dual_mul_f32 v49, v35, v23
	s_delay_alu instid0(VALU_DEP_3) | instskip(SKIP_4) | instid1(VALU_DEP_4)
	v_lshl_add_u32 v27, v25, 3, 0
	v_mul_f32_e32 v25, v31, v12
	v_dual_mul_f32 v41, v35, v20 :: v_dual_mul_f32 v52, v5, v33
	v_mul_f32_e32 v33, v4, v33
	v_fma_f32 v12, v30, v12, -v24
	v_fmac_f32_e32 v25, v30, v13
	v_fma_f32 v13, v32, v16, -v37
	v_fma_f32 v14, v30, v14, -v44
	v_fmac_f32_e32 v45, v30, v15
	v_fma_f32 v15, v32, v18, -v47
	v_fmac_f32_e32 v48, v32, v19
	v_fma_f32 v16, v34, v20, -v39
	v_sub_f32_e32 v18, v9, v38
	v_fma_f32 v17, v34, v22, -v49
	v_fmac_f32_e32 v33, v5, v32
	v_fmac_f32_e32 v41, v34, v21
	v_dual_sub_f32 v5, v12, v16 :: v_dual_sub_f32 v16, v10, v15
	s_delay_alu instid0(VALU_DEP_4)
	v_sub_f32_e32 v15, v14, v17
	v_mul_f32_e32 v51, v3, v31
	v_sub_f32_e32 v13, v8, v13
	v_mul_f32_e32 v31, v2, v31
	v_dual_fmac_f32 v50, v34, v23 :: v_dual_sub_f32 v23, v1, v33
	v_fma_f32 v33, v10, 2.0, -v16
	v_fma_f32 v14, v14, 2.0, -v15
	s_delay_alu instid0(VALU_DEP_4)
	v_fmac_f32_e32 v31, v3, v30
	v_fma_f32 v3, v4, v32, -v52
	v_fma_f32 v21, v8, 2.0, -v13
	v_fma_f32 v12, v12, 2.0, -v5
	v_sub_f32_e32 v14, v33, v14
	v_sub_f32_e32 v17, v45, v50
	v_mul_f32_e32 v53, v7, v35
	s_delay_alu instid0(VALU_DEP_4) | instskip(SKIP_1) | instid1(VALU_DEP_4)
	v_dual_mul_f32 v35, v6, v35 :: v_dual_sub_f32 v10, v21, v12
	v_sub_f32_e32 v22, v0, v3
	v_sub_f32_e32 v8, v16, v17
	s_delay_alu instid0(VALU_DEP_4) | instskip(NEXT) | instid1(VALU_DEP_4)
	v_fma_f32 v4, v6, v34, -v53
	v_fmac_f32_e32 v35, v7, v34
	v_sub_f32_e32 v19, v11, v48
	v_add_f32_e32 v7, v18, v5
	v_fma_f32 v5, v1, 2.0, -v23
	v_fma_f32 v16, v16, 2.0, -v8
	v_sub_f32_e32 v20, v31, v35
	v_sub_f32_e32 v6, v25, v41
	v_fma_f32 v2, v2, v30, -v51
	v_fma_f32 v30, v9, 2.0, -v18
	v_fma_f32 v34, v11, 2.0, -v19
	v_sub_f32_e32 v24, v22, v20
	v_fma_f32 v32, v25, 2.0, -v6
	v_sub_f32_e32 v3, v2, v4
	v_fma_f32 v4, v0, 2.0, -v22
	v_fma_f32 v35, v45, 2.0, -v17
	;; [unrolled: 1-line block ×3, first 2 shown]
	v_sub_f32_e32 v6, v13, v6
	v_fma_f32 v0, v2, 2.0, -v3
	v_add_f32_e32 v25, v23, v3
	v_sub_f32_e32 v11, v30, v32
	v_sub_f32_e32 v3, v5, v1
	v_fma_f32 v12, v13, 2.0, -v6
	v_dual_sub_f32 v2, v4, v0 :: v_dual_add_f32 v9, v19, v15
	v_sub_f32_e32 v15, v34, v35
	v_fma_f32 v0, v22, 2.0, -v24
	v_fma_f32 v1, v23, 2.0, -v25
	;; [unrolled: 1-line block ×8, first 2 shown]
	ds_store_2addr_b64 v27, v[10:11], v[6:7] offset0:8 offset1:12
	ds_store_2addr_b64 v27, v[18:19], v[12:13] offset1:4
	ds_store_2addr_b64 v36, v[20:21], v[16:17] offset1:4
	ds_store_2addr_b64 v36, v[14:15], v[8:9] offset0:8 offset1:12
	s_and_saveexec_b32 s1, s0
	s_cbranch_execz .LBB0_25
; %bb.24:
	v_lshlrev_b32_e32 v6, 2, v28
	v_fma_f32 v5, v5, 2.0, -v3
	v_fma_f32 v4, v4, 2.0, -v2
	s_delay_alu instid0(VALU_DEP_3) | instskip(NEXT) | instid1(VALU_DEP_1)
	v_and_or_b32 v6, 0x3f0, v6, v26
	v_lshl_add_u32 v6, v6, 3, 0
	ds_store_2addr_b64 v6, v[4:5], v[0:1] offset1:4
	ds_store_2addr_b64 v6, v[2:3], v[24:25] offset0:8 offset1:12
.LBB0_25:
	s_wait_alu 0xfffe
	s_or_b32 exec_lo, exec_lo, s1
	v_add_nc_u32_e32 v13, 0x800, v46
	v_add_nc_u32_e32 v12, 0x400, v46
	global_wb scope:SCOPE_SE
	s_wait_dscnt 0x0
	s_barrier_signal -1
	s_barrier_wait -1
	global_inv scope:SCOPE_SE
	ds_load_2addr_b64 v[8:11], v46 offset1:48
	ds_load_2addr_b64 v[4:7], v46 offset0:96 offset1:176
	ds_load_2addr_b64 v[20:23], v13 offset0:96 offset1:144
	;; [unrolled: 1-line block ×3, first 2 shown]
	ds_load_b64 v[26:27], v46 offset:3584
	v_cmp_gt_u32_e64 s0, 32, v40
	s_delay_alu instid0(VALU_DEP_1)
	s_and_saveexec_b32 s1, s0
	s_cbranch_execz .LBB0_27
; %bb.26:
	ds_load_2addr_b64 v[0:3], v12 offset0:16 offset1:192
	ds_load_b64 v[24:25], v46 offset:3968
.LBB0_27:
	s_wait_alu 0xfffe
	s_or_b32 exec_lo, exec_lo, s1
	v_and_b32_e32 v30, 15, v40
	v_lshrrev_b32_e32 v31, 4, v40
	v_lshrrev_b32_e32 v29, 4, v29
	;; [unrolled: 1-line block ×3, first 2 shown]
	s_delay_alu instid0(VALU_DEP_4) | instskip(NEXT) | instid1(VALU_DEP_4)
	v_lshlrev_b32_e32 v12, 4, v30
	v_mul_u32_u24_e32 v31, 48, v31
	s_delay_alu instid0(VALU_DEP_4) | instskip(NEXT) | instid1(VALU_DEP_4)
	v_mul_u32_u24_e32 v29, 48, v29
	v_mul_u32_u24_e32 v28, 48, v28
	global_load_b128 v[12:15], v12, s[4:5] offset:96
	global_wb scope:SCOPE_SE
	s_wait_loadcnt_dscnt 0x0
	s_barrier_signal -1
	s_barrier_wait -1
	global_inv scope:SCOPE_SE
	v_dual_mul_f32 v35, v15, v20 :: v_dual_mul_f32 v32, v13, v7
	v_mul_f32_e32 v39, v15, v22
	v_dual_mul_f32 v33, v13, v6 :: v_dual_mul_f32 v34, v15, v21
	v_mul_f32_e32 v37, v13, v16
	v_dual_mul_f32 v36, v13, v17 :: v_dual_mul_f32 v45, v15, v27
	v_dual_mul_f32 v38, v15, v23 :: v_dual_fmac_f32 v35, v14, v21
	s_delay_alu instid0(VALU_DEP_4)
	v_dual_mul_f32 v44, v13, v18 :: v_dual_fmac_f32 v33, v12, v7
	v_fma_f32 v6, v12, v6, -v32
	v_fma_f32 v7, v14, v20, -v34
	;; [unrolled: 1-line block ×3, first 2 shown]
	v_mul_f32_e32 v41, v13, v19
	v_dual_mul_f32 v47, v15, v26 :: v_dual_fmac_f32 v44, v12, v19
	v_fmac_f32_e32 v37, v12, v17
	v_fma_f32 v17, v14, v22, -v38
	v_sub_f32_e32 v22, v33, v35
	v_fmac_f32_e32 v39, v14, v23
	v_dual_add_f32 v23, v33, v9 :: v_dual_add_f32 v32, v10, v16
	v_add_f32_e32 v21, v6, v7
	v_fma_f32 v19, v14, v26, -v45
	v_dual_fmac_f32 v47, v14, v27 :: v_dual_sub_f32 v38, v16, v17
	v_add_f32_e32 v20, v6, v8
	v_fma_f32 v18, v12, v18, -v41
	v_dual_add_f32 v26, v33, v35 :: v_dual_add_f32 v33, v16, v17
	v_add_f32_e32 v16, v32, v17
	v_fma_f32 v8, -0.5, v21, v8
	v_add_f32_e32 v36, v11, v37
	v_dual_sub_f32 v34, v37, v39 :: v_dual_add_f32 v41, v4, v18
	v_add_f32_e32 v37, v37, v39
	v_sub_f32_e32 v27, v6, v7
	v_dual_sub_f32 v48, v44, v47 :: v_dual_add_f32 v49, v5, v44
	v_fma_f32 v9, -0.5, v26, v9
	v_add_f32_e32 v6, v20, v7
	v_fma_f32 v10, -0.5, v33, v10
	v_add_f32_e32 v45, v18, v19
	v_fmamk_f32 v20, v22, 0x3f5db3d7, v8
	v_dual_add_f32 v44, v44, v47 :: v_dual_fmac_f32 v11, -0.5, v37
	v_or_b32_e32 v31, v31, v30
	v_or_b32_e32 v29, v29, v30
	;; [unrolled: 1-line block ×3, first 2 shown]
	s_delay_alu instid0(VALU_DEP_4)
	v_dual_sub_f32 v50, v18, v19 :: v_dual_fmac_f32 v5, -0.5, v44
	v_dual_add_f32 v7, v23, v35 :: v_dual_fmac_f32 v8, 0xbf5db3d7, v22
	v_fmamk_f32 v22, v34, 0x3f5db3d7, v10
	v_fmac_f32_e32 v10, 0xbf5db3d7, v34
	v_fma_f32 v4, -0.5, v45, v4
	v_lshl_add_u32 v31, v31, 3, 0
	v_fmamk_f32 v21, v27, 0xbf5db3d7, v9
	v_fmac_f32_e32 v9, 0x3f5db3d7, v27
	v_lshl_add_u32 v29, v29, 3, 0
	v_add_f32_e32 v17, v36, v39
	v_dual_add_f32 v18, v41, v19 :: v_dual_fmamk_f32 v23, v38, 0xbf5db3d7, v11
	v_fmac_f32_e32 v11, 0x3f5db3d7, v38
	v_lshl_add_u32 v28, v28, 3, 0
	v_dual_add_f32 v19, v49, v47 :: v_dual_fmamk_f32 v26, v48, 0x3f5db3d7, v4
	v_dual_fmamk_f32 v27, v50, 0xbf5db3d7, v5 :: v_dual_fmac_f32 v4, 0xbf5db3d7, v48
	v_fmac_f32_e32 v5, 0x3f5db3d7, v50
	ds_store_2addr_b64 v31, v[6:7], v[20:21] offset1:16
	ds_store_b64 v31, v[8:9] offset:256
	ds_store_2addr_b64 v29, v[16:17], v[22:23] offset1:16
	ds_store_b64 v29, v[10:11] offset:256
	;; [unrolled: 2-line block ×3, first 2 shown]
	s_and_saveexec_b32 s1, s0
	s_cbranch_execz .LBB0_29
; %bb.28:
	v_dual_mul_f32 v4, v2, v13 :: v_dual_mul_f32 v5, v24, v15
	v_dual_mul_f32 v6, v3, v13 :: v_dual_mul_f32 v7, v25, v15
	s_delay_alu instid0(VALU_DEP_2) | instskip(NEXT) | instid1(VALU_DEP_2)
	v_dual_fmac_f32 v5, v25, v14 :: v_dual_add_nc_u32 v8, 0x90, v40
	v_fma_f32 v6, v2, v12, -v6
	s_delay_alu instid0(VALU_DEP_3) | instskip(SKIP_1) | instid1(VALU_DEP_4)
	v_fma_f32 v7, v24, v14, -v7
	v_fmac_f32_e32 v4, v3, v12
	v_lshrrev_b32_e32 v2, 4, v8
	s_delay_alu instid0(VALU_DEP_3) | instskip(NEXT) | instid1(VALU_DEP_3)
	v_sub_f32_e32 v9, v6, v7
	v_dual_add_f32 v3, v4, v5 :: v_dual_add_f32 v8, v6, v7
	s_delay_alu instid0(VALU_DEP_3) | instskip(SKIP_1) | instid1(VALU_DEP_3)
	v_mul_u32_u24_e32 v11, 48, v2
	v_add_f32_e32 v6, v0, v6
	v_fma_f32 v3, -0.5, v3, v1
	v_sub_f32_e32 v10, v4, v5
	v_fma_f32 v2, -0.5, v8, v0
	v_add_f32_e32 v4, v1, v4
	v_or_b32_e32 v8, v11, v30
	v_fmamk_f32 v1, v9, 0xbf5db3d7, v3
	s_delay_alu instid0(VALU_DEP_4) | instskip(NEXT) | instid1(VALU_DEP_4)
	v_dual_fmac_f32 v3, 0x3f5db3d7, v9 :: v_dual_fmamk_f32 v0, v10, 0x3f5db3d7, v2
	v_dual_add_f32 v5, v4, v5 :: v_dual_add_f32 v4, v6, v7
	s_delay_alu instid0(VALU_DEP_4)
	v_lshl_add_u32 v6, v8, 3, 0
	v_fmac_f32_e32 v2, 0xbf5db3d7, v10
	ds_store_2addr_b64 v6, v[4:5], v[0:1] offset1:16
	ds_store_b64 v6, v[2:3] offset:256
.LBB0_29:
	s_wait_alu 0xfffe
	s_or_b32 exec_lo, exec_lo, s1
	v_mul_u32_u24_e32 v0, 10, v40
	global_wb scope:SCOPE_SE
	s_wait_dscnt 0x0
	s_barrier_signal -1
	s_barrier_wait -1
	global_inv scope:SCOPE_SE
	v_lshlrev_b32_e32 v0, 3, v0
	s_clause 0x4
	global_load_b128 v[16:19], v0, s[4:5] offset:352
	global_load_b128 v[12:15], v0, s[4:5] offset:368
	;; [unrolled: 1-line block ×5, first 2 shown]
	ds_load_2addr_b64 v[0:3], v46 offset1:48
	ds_load_2addr_b64 v[36:39], v46 offset0:96 offset1:144
	s_wait_loadcnt_dscnt 0x400
	v_dual_mul_f32 v48, v19, v37 :: v_dual_add_nc_u32 v41, 0x800, v46
	ds_load_2addr_b64 v[32:35], v46 offset0:192 offset1:240
	ds_load_2addr_b64 v[28:31], v41 offset0:32 offset1:80
	ds_load_2addr_b64 v[24:27], v41 offset0:128 offset1:176
	ds_load_b64 v[44:45], v46 offset:3840
	v_mul_f32_e32 v47, v17, v3
	v_mul_f32_e32 v17, v17, v2
	;; [unrolled: 1-line block ×3, first 2 shown]
	global_wb scope:SCOPE_SE
	s_wait_loadcnt_dscnt 0x0
	s_barrier_signal -1
	v_fma_f32 v2, v16, v2, -v47
	v_mul_f32_e32 v49, v13, v39
	v_mul_f32_e32 v13, v13, v38
	s_barrier_wait -1
	global_inv scope:SCOPE_SE
	v_dual_fmac_f32 v13, v12, v39 :: v_dual_mul_f32 v50, v15, v33
	v_mul_f32_e32 v51, v9, v35
	v_mul_f32_e32 v52, v29, v11
	v_fmac_f32_e32 v17, v16, v3
	v_mul_f32_e32 v11, v28, v11
	v_fma_f32 v16, v12, v38, -v49
	v_mul_f32_e32 v9, v9, v34
	v_mul_f32_e32 v55, v27, v21
	v_fma_f32 v12, v14, v32, -v50
	v_mul_f32_e32 v21, v26, v21
	v_dual_mul_f32 v15, v15, v32 :: v_dual_mul_f32 v54, v25, v7
	v_dual_mul_f32 v53, v31, v5 :: v_dual_mul_f32 v56, v45, v23
	v_fma_f32 v3, v18, v36, -v48
	v_fmac_f32_e32 v9, v8, v35
	v_fmac_f32_e32 v19, v18, v37
	v_fma_f32 v18, v26, v20, -v55
	v_mul_f32_e32 v5, v30, v5
	v_mul_f32_e32 v7, v24, v7
	v_dual_fmac_f32 v21, v27, v20 :: v_dual_add_f32 v20, v17, v1
	v_fmac_f32_e32 v11, v29, v10
	v_add_f32_e32 v26, v3, v18
	s_delay_alu instid0(VALU_DEP_2)
	v_dual_fmac_f32 v5, v31, v4 :: v_dual_sub_f32 v38, v9, v11
	v_fmac_f32_e32 v15, v14, v33
	v_fma_f32 v14, v8, v34, -v51
	v_fma_f32 v8, v28, v10, -v52
	;; [unrolled: 1-line block ×4, first 2 shown]
	v_sub_f32_e32 v28, v3, v18
	v_dual_fmac_f32 v7, v25, v6 :: v_dual_add_f32 v6, v2, v0
	v_fma_f32 v24, v44, v22, -v56
	s_delay_alu instid0(VALU_DEP_4) | instskip(NEXT) | instid1(VALU_DEP_4)
	v_sub_f32_e32 v32, v16, v4
	v_mul_f32_e32 v56, 0xbf4178ce, v28
	s_delay_alu instid0(VALU_DEP_4)
	v_dual_mul_f32 v58, 0x3e903f40, v28 :: v_dual_add_f32 v3, v6, v3
	v_add_f32_e32 v6, v20, v19
	v_dual_mul_f32 v23, v44, v23 :: v_dual_sub_f32 v36, v15, v5
	v_sub_f32_e32 v44, v14, v8
	v_mul_f32_e32 v60, 0x3f7d64f0, v28
	v_mul_f32_e32 v80, 0x3f68dda4, v38
	s_delay_alu instid0(VALU_DEP_4) | instskip(SKIP_3) | instid1(VALU_DEP_4)
	v_dual_fmac_f32 v23, v45, v22 :: v_dual_add_f32 v22, v2, v24
	v_sub_f32_e32 v2, v2, v24
	v_mul_f32_e32 v72, 0xbe903f40, v36
	v_dual_mul_f32 v78, 0x3f0a6770, v38 :: v_dual_add_f32 v3, v3, v16
	v_add_f32_e32 v25, v17, v23
	s_delay_alu instid0(VALU_DEP_4) | instskip(SKIP_2) | instid1(VALU_DEP_3)
	v_dual_sub_f32 v17, v17, v23 :: v_dual_mul_f32 v50, 0xbf7d64f0, v2
	v_dual_mul_f32 v52, 0xbf4178ce, v2 :: v_dual_add_f32 v27, v19, v21
	v_dual_sub_f32 v29, v19, v21 :: v_dual_mul_f32 v62, 0xbf7d64f0, v32
	v_mul_f32_e32 v49, 0xbf7d64f0, v17
	v_dual_mul_f32 v20, 0xbf0a6770, v2 :: v_dual_sub_f32 v33, v13, v7
	v_mul_f32_e32 v66, 0x3f68dda4, v32
	v_mul_f32_e32 v48, 0xbf68dda4, v2
	;; [unrolled: 1-line block ×4, first 2 shown]
	v_fmamk_f32 v88, v25, 0xbe11bafb, v50
	v_fma_f32 v50, 0xbe11bafb, v25, -v50
	v_mul_f32_e32 v77, 0xbe903f40, v38
	v_fmamk_f32 v90, v25, 0xbf27a4f4, v52
	v_fma_f32 v52, 0xbf27a4f4, v25, -v52
	v_mul_f32_e32 v79, 0xbf4178ce, v38
	v_mul_f32_e32 v38, 0xbf7d64f0, v38
	v_fma_f32 v87, 0xbe11bafb, v22, -v49
	v_dual_mul_f32 v19, 0xbf0a6770, v17 :: v_dual_add_f32 v30, v16, v4
	v_dual_add_f32 v31, v13, v7 :: v_dual_mul_f32 v64, 0x3e903f40, v32
	v_dual_sub_f32 v35, v12, v10 :: v_dual_mul_f32 v68, 0xbf0a6770, v32
	v_add_f32_e32 v39, v14, v8
	v_mul_f32_e32 v65, 0x3f68dda4, v33
	v_dual_mul_f32 v69, 0xbf4178ce, v36 :: v_dual_add_f32 v6, v6, v13
	v_fma_f32 v13, 0x3f575c64, v22, -v19
	v_fma_f32 v89, 0xbf27a4f4, v22, -v51
	v_mul_f32_e32 v47, 0xbf68dda4, v17
	v_dual_mul_f32 v17, 0xbe903f40, v17 :: v_dual_mul_f32 v76, 0xbe903f40, v35
	v_dual_mul_f32 v53, 0xbf68dda4, v29 :: v_dual_add_f32 v6, v6, v15
	v_dual_mul_f32 v54, 0xbf68dda4, v28 :: v_dual_add_f32 v45, v9, v11
	v_mul_f32_e32 v70, 0x3f7d64f0, v36
	v_mul_f32_e32 v74, 0x3f7d64f0, v35
	v_dual_fmamk_f32 v16, v25, 0x3f575c64, v20 :: v_dual_fmac_f32 v19, 0x3f575c64, v22
	v_mul_f32_e32 v71, 0xbf0a6770, v36
	v_mul_f32_e32 v36, 0x3f68dda4, v36
	v_fma_f32 v20, 0x3f575c64, v25, -v20
	s_delay_alu instid0(VALU_DEP_4)
	v_add_f32_e32 v16, v16, v1
	v_fma_f32 v91, 0xbf75a155, v22, -v17
	v_dual_fmamk_f32 v92, v25, 0xbf75a155, v2 :: v_dual_fmac_f32 v17, 0xbf75a155, v22
	v_mul_f32_e32 v55, 0xbf4178ce, v29
	v_fma_f32 v103, 0x3ed4b147, v30, -v65
	v_add_f32_e32 v13, v13, v0
	v_fmac_f32_e32 v65, 0x3ed4b147, v30
	v_fma_f32 v118, 0x3ed4b147, v39, -v80
	v_dual_fmac_f32 v80, 0x3ed4b147, v39 :: v_dual_add_f32 v3, v3, v12
	v_dual_mul_f32 v57, 0x3e903f40, v29 :: v_dual_add_f32 v34, v12, v10
	v_dual_add_f32 v37, v15, v5 :: v_dual_mul_f32 v32, 0xbf4178ce, v32
	v_mul_f32_e32 v28, 0x3f0a6770, v28
	v_mul_f32_e32 v61, 0xbf7d64f0, v33
	v_dual_mul_f32 v73, 0xbf4178ce, v35 :: v_dual_add_f32 v20, v20, v1
	v_dual_mul_f32 v81, 0xbe903f40, v44 :: v_dual_add_f32 v12, v92, v1
	v_mul_f32_e32 v82, 0x3f0a6770, v44
	v_mul_f32_e32 v84, 0x3f68dda4, v44
	v_fma_f32 v85, 0x3ed4b147, v22, -v47
	v_dual_fmamk_f32 v86, v25, 0x3ed4b147, v48 :: v_dual_fmac_f32 v47, 0x3ed4b147, v22
	v_fma_f32 v48, 0x3ed4b147, v25, -v48
	v_mul_f32_e32 v75, 0xbf0a6770, v35
	v_mul_f32_e32 v35, 0x3f68dda4, v35
	v_fmac_f32_e32 v49, 0xbe11bafb, v22
	v_fmac_f32_e32 v51, 0xbf27a4f4, v22
	v_fma_f32 v2, 0xbf75a155, v25, -v2
	v_fma_f32 v22, 0x3ed4b147, v26, -v53
	v_mul_f32_e32 v83, 0xbf4178ce, v44
	v_mul_f32_e32 v44, 0xbf7d64f0, v44
	v_fma_f32 v93, 0xbf27a4f4, v26, -v55
	v_dual_fmamk_f32 v94, v27, 0xbf27a4f4, v56 :: v_dual_fmac_f32 v55, 0xbf27a4f4, v26
	v_fmamk_f32 v25, v27, 0x3ed4b147, v54
	v_fma_f32 v54, 0x3ed4b147, v27, -v54
	v_mul_f32_e32 v59, 0x3f7d64f0, v29
	v_mul_f32_e32 v29, 0x3f0a6770, v29
	v_fma_f32 v95, 0xbf75a155, v26, -v57
	v_mul_f32_e32 v63, 0x3e903f40, v33
	v_dual_fmamk_f32 v96, v27, 0xbf75a155, v58 :: v_dual_fmac_f32 v57, 0xbf75a155, v26
	v_mul_f32_e32 v67, 0xbf0a6770, v33
	v_fmamk_f32 v98, v27, 0xbe11bafb, v60
	v_fma_f32 v60, 0xbe11bafb, v27, -v60
	v_add_f32_e32 v52, v52, v1
	v_mul_f32_e32 v33, 0xbf4178ce, v33
	v_dual_fmac_f32 v53, 0x3ed4b147, v26 :: v_dual_fmamk_f32 v104, v31, 0x3ed4b147, v66
	v_fma_f32 v56, 0xbf27a4f4, v27, -v56
	v_fma_f32 v58, 0xbf75a155, v27, -v58
	;; [unrolled: 1-line block ×3, first 2 shown]
	v_fmac_f32_e32 v59, 0xbe11bafb, v26
	v_fma_f32 v99, 0x3f575c64, v26, -v29
	v_dual_fmamk_f32 v100, v27, 0x3f575c64, v28 :: v_dual_fmac_f32 v29, 0x3f575c64, v26
	v_fma_f32 v26, 0x3f575c64, v27, -v28
	v_fma_f32 v27, 0xbe11bafb, v30, -v61
	v_dual_fmamk_f32 v28, v31, 0xbe11bafb, v62 :: v_dual_fmac_f32 v61, 0xbe11bafb, v30
	v_fma_f32 v62, 0xbe11bafb, v31, -v62
	;; [unrolled: 3-line block ×3, first 2 shown]
	v_fma_f32 v66, 0x3ed4b147, v31, -v66
	v_fma_f32 v105, 0x3f575c64, v30, -v67
	v_dual_fmamk_f32 v106, v31, 0x3f575c64, v68 :: v_dual_fmac_f32 v67, 0x3f575c64, v30
	v_fma_f32 v68, 0x3f575c64, v31, -v68
	v_fma_f32 v107, 0xbf27a4f4, v30, -v33
	v_dual_fmac_f32 v33, 0xbf27a4f4, v30 :: v_dual_fmamk_f32 v30, v31, 0xbf27a4f4, v32
	v_fma_f32 v31, 0xbf27a4f4, v31, -v32
	v_fma_f32 v32, 0xbf27a4f4, v34, -v69
	v_fmac_f32_e32 v69, 0xbf27a4f4, v34
	v_fma_f32 v108, 0xbe11bafb, v34, -v70
	v_dual_fmac_f32 v70, 0xbe11bafb, v34 :: v_dual_add_f32 v19, v19, v0
	v_fma_f32 v109, 0x3f575c64, v34, -v71
	v_fmac_f32_e32 v71, 0x3f575c64, v34
	v_fma_f32 v110, 0xbf75a155, v34, -v72
	v_fma_f32 v111, 0x3ed4b147, v34, -v36
	v_dual_fmac_f32 v36, 0x3ed4b147, v34 :: v_dual_fmamk_f32 v115, v37, 0x3ed4b147, v35
	v_dual_fmamk_f32 v112, v37, 0xbe11bafb, v74 :: v_dual_add_f32 v47, v47, v0
	v_fma_f32 v74, 0xbe11bafb, v37, -v74
	v_fmamk_f32 v114, v37, 0xbf75a155, v76
	v_fma_f32 v76, 0xbf75a155, v37, -v76
	v_fma_f32 v35, 0x3ed4b147, v37, -v35
	;; [unrolled: 1-line block ×3, first 2 shown]
	v_fmac_f32_e32 v78, 0x3f575c64, v39
	v_fma_f32 v117, 0xbf27a4f4, v39, -v79
	v_fmac_f32_e32 v79, 0xbf27a4f4, v39
	v_fma_f32 v119, 0xbe11bafb, v39, -v38
	v_fmac_f32_e32 v38, 0xbe11bafb, v39
	v_fmamk_f32 v120, v45, 0x3f575c64, v82
	v_fma_f32 v82, 0x3f575c64, v45, -v82
	v_fmamk_f32 v121, v45, 0xbf27a4f4, v83
	v_fma_f32 v83, 0xbf27a4f4, v45, -v83
	v_dual_fmamk_f32 v122, v45, 0x3ed4b147, v84 :: v_dual_add_f32 v51, v51, v0
	v_fma_f32 v84, 0x3ed4b147, v45, -v84
	v_fmamk_f32 v123, v45, 0xbe11bafb, v44
	v_fma_f32 v44, 0xbe11bafb, v45, -v44
	v_dual_add_f32 v48, v48, v1 :: v_dual_fmamk_f32 v113, v37, 0x3f575c64, v75
	v_add_f32_e32 v12, v100, v12
	v_fma_f32 v75, 0x3f575c64, v37, -v75
	v_add_f32_e32 v50, v50, v1
	v_fmac_f32_e32 v72, 0xbf75a155, v34
	v_fmamk_f32 v34, v37, 0xbf27a4f4, v73
	v_fma_f32 v73, 0xbf27a4f4, v37, -v73
	v_fma_f32 v37, 0xbf75a155, v39, -v77
	v_fmac_f32_e32 v77, 0xbf75a155, v39
	v_fmamk_f32 v39, v45, 0xbf75a155, v81
	v_fma_f32 v81, 0xbf75a155, v45, -v81
	v_add_f32_e32 v45, v85, v0
	v_dual_add_f32 v85, v86, v1 :: v_dual_add_f32 v86, v87, v0
	v_dual_add_f32 v87, v88, v1 :: v_dual_add_f32 v88, v89, v0
	v_add_f32_e32 v89, v90, v1
	s_delay_alu instid0(VALU_DEP_4) | instskip(SKIP_4) | instid1(VALU_DEP_3)
	v_add_f32_e32 v15, v93, v45
	v_dual_add_f32 v45, v58, v50 :: v_dual_add_f32 v50, v60, v52
	v_dual_add_f32 v1, v2, v1 :: v_dual_add_f32 v2, v3, v14
	;; [unrolled: 1-line block ×4, first 2 shown]
	v_add_f32_e32 v2, v2, v8
	v_dual_add_f32 v16, v94, v85 :: v_dual_add_f32 v13, v53, v19
	v_add_f32_e32 v19, v56, v48
	v_add_f32_e32 v14, v54, v20
	s_delay_alu instid0(VALU_DEP_4) | instskip(SKIP_4) | instid1(VALU_DEP_4)
	v_dual_add_f32 v2, v2, v10 :: v_dual_add_f32 v49, v49, v0
	v_add_f32_e32 v0, v17, v0
	v_add_f32_e32 v22, v96, v87
	v_dual_add_f32 v48, v98, v89 :: v_dual_add_f32 v17, v55, v47
	v_add_f32_e32 v12, v30, v12
	v_add_f32_e32 v0, v29, v0
	v_add_f32_e32 v6, v27, v6
	v_add_f32_e32 v20, v95, v86
	s_delay_alu instid0(VALU_DEP_3) | instskip(SKIP_2) | instid1(VALU_DEP_3)
	v_dual_add_f32 v0, v33, v0 :: v_dual_add_f32 v3, v3, v11
	v_add_f32_e32 v11, v62, v14
	v_add_f32_e32 v14, v102, v16
	v_dual_add_f32 v16, v64, v19 :: v_dual_add_f32 v3, v3, v5
	v_dual_add_f32 v19, v104, v22 :: v_dual_add_f32 v22, v66, v45
	v_add_f32_e32 v8, v28, v9
	v_dual_add_f32 v28, v68, v50 :: v_dual_add_f32 v1, v26, v1
	v_dual_add_f32 v26, v106, v48 :: v_dual_add_f32 v9, v61, v13
	v_add_f32_e32 v25, v57, v49
	v_add_f32_e32 v49, v59, v51
	v_dual_add_f32 v5, v32, v6 :: v_dual_add_f32 v6, v34, v8
	s_delay_alu instid0(VALU_DEP_4)
	v_add_f32_e32 v8, v69, v9
	v_add_f32_e32 v9, v73, v11
	v_dual_add_f32 v11, v112, v14 :: v_dual_add_f32 v14, v74, v16
	v_add_f32_e32 v32, v3, v7
	v_dual_add_f32 v51, v99, v90 :: v_dual_add_f32 v16, v113, v19
	v_add_f32_e32 v19, v75, v22
	v_add_f32_e32 v22, v114, v26
	v_dual_add_f32 v26, v76, v28 :: v_dual_add_f32 v1, v31, v1
	v_add_f32_e32 v13, v101, v15
	v_add_f32_e32 v15, v63, v17
	v_dual_add_f32 v17, v103, v20 :: v_dual_add_f32 v20, v65, v25
	s_delay_alu instid0(VALU_DEP_4) | instskip(NEXT) | instid1(VALU_DEP_4)
	v_dual_add_f32 v30, v35, v1 :: v_dual_add_f32 v47, v97, v88
	v_dual_add_f32 v10, v108, v13 :: v_dual_add_f32 v31, v2, v4
	s_delay_alu instid0(VALU_DEP_4) | instskip(NEXT) | instid1(VALU_DEP_2)
	v_dual_add_f32 v2, v77, v8 :: v_dual_add_f32 v13, v70, v15
	v_dual_add_f32 v25, v105, v47 :: v_dual_add_f32 v4, v116, v10
	v_add_f32_e32 v15, v109, v17
	v_add_f32_e32 v17, v71, v20
	;; [unrolled: 1-line block ×3, first 2 shown]
	s_delay_alu instid0(VALU_DEP_4) | instskip(SKIP_2) | instid1(VALU_DEP_3)
	v_add_f32_e32 v20, v110, v25
	v_add_f32_e32 v28, v115, v12
	v_dual_add_f32 v8, v117, v15 :: v_dual_add_f32 v1, v39, v6
	v_dual_add_f32 v25, v72, v27 :: v_dual_add_f32 v12, v118, v20
	v_add_f32_e32 v20, v31, v18
	v_dual_add_f32 v29, v107, v51 :: v_dual_add_f32 v6, v78, v13
	s_delay_alu instid0(VALU_DEP_3) | instskip(SKIP_1) | instid1(VALU_DEP_3)
	v_dual_add_f32 v7, v82, v14 :: v_dual_add_f32 v14, v80, v25
	v_add_f32_e32 v3, v81, v9
	v_add_f32_e32 v27, v111, v29
	;; [unrolled: 1-line block ×5, first 2 shown]
	s_delay_alu instid0(VALU_DEP_4) | instskip(NEXT) | instid1(VALU_DEP_4)
	v_dual_add_f32 v13, v122, v22 :: v_dual_add_f32 v16, v119, v27
	v_add_f32_e32 v18, v38, v29
	v_add_f32_e32 v10, v79, v17
	v_dual_add_f32 v0, v37, v5 :: v_dual_add_f32 v5, v120, v11
	v_add_f32_e32 v17, v123, v28
	v_add_f32_e32 v11, v83, v19
	;; [unrolled: 1-line block ×4, first 2 shown]
	ds_store_2addr_b64 v46, v[4:5], v[8:9] offset0:96 offset1:144
	v_dual_add_f32 v4, v20, v24 :: v_dual_add_f32 v5, v21, v23
	ds_store_2addr_b64 v46, v[12:13], v[16:17] offset0:192 offset1:240
	ds_store_2addr_b64 v41, v[18:19], v[14:15] offset0:32 offset1:80
	;; [unrolled: 1-line block ×3, first 2 shown]
	ds_store_b64 v46, v[2:3] offset:3840
	ds_store_2addr_b64 v46, v[4:5], v[0:1] offset1:48
	global_wb scope:SCOPE_SE
	s_wait_dscnt 0x0
	s_barrier_signal -1
	s_barrier_wait -1
	global_inv scope:SCOPE_SE
	s_and_saveexec_b32 s0, vcc_lo
	s_cbranch_execz .LBB0_31
; %bb.30:
	v_dual_mov_b32 v41, 0 :: v_dual_add_nc_u32 v6, 48, v40
	v_lshl_add_u32 v24, v40, 3, 0
	v_add_co_u32 v28, vcc_lo, s8, v42
	s_delay_alu instid0(VALU_DEP_3)
	v_lshlrev_b64_e32 v[4:5], 3, v[40:41]
	s_wait_alu 0xfffd
	v_add_co_ci_u32_e32 v29, vcc_lo, s9, v43, vcc_lo
	v_dual_mov_b32 v7, v41 :: v_dual_add_nc_u32 v8, 0x60, v40
	ds_load_2addr_b64 v[0:3], v24 offset1:48
	v_add_co_u32 v10, vcc_lo, v28, v4
	v_dual_mov_b32 v9, v41 :: v_dual_add_nc_u32 v14, 0x90, v40
	s_wait_alu 0xfffd
	v_add_co_ci_u32_e32 v11, vcc_lo, v29, v5, vcc_lo
	v_lshlrev_b64_e32 v[12:13], 3, v[6:7]
	ds_load_2addr_b64 v[4:7], v24 offset0:96 offset1:144
	v_dual_mov_b32 v15, v41 :: v_dual_add_nc_u32 v16, 0xc0, v40
	v_lshlrev_b64_e32 v[8:9], 3, v[8:9]
	v_dual_mov_b32 v17, v41 :: v_dual_add_nc_u32 v18, 0xf0, v40
	v_add_co_u32 v12, vcc_lo, v28, v12
	s_delay_alu instid0(VALU_DEP_4)
	v_lshlrev_b64_e32 v[14:15], 3, v[14:15]
	s_wait_alu 0xfffd
	v_add_co_ci_u32_e32 v13, vcc_lo, v29, v13, vcc_lo
	v_add_co_u32 v8, vcc_lo, v28, v8
	s_wait_alu 0xfffd
	v_add_co_ci_u32_e32 v9, vcc_lo, v29, v9, vcc_lo
	v_add_co_u32 v14, vcc_lo, v28, v14
	s_wait_alu 0xfffd
	v_add_co_ci_u32_e32 v15, vcc_lo, v29, v15, vcc_lo
	v_mov_b32_e32 v19, v41
	s_wait_dscnt 0x1
	s_clause 0x1
	global_store_b64 v[10:11], v[0:1], off
	global_store_b64 v[12:13], v[2:3], off
	s_wait_dscnt 0x0
	s_clause 0x1
	global_store_b64 v[8:9], v[4:5], off
	global_store_b64 v[14:15], v[6:7], off
	v_add_nc_u32_e32 v8, 0x120, v40
	v_lshlrev_b64_e32 v[4:5], 3, v[16:17]
	v_dual_mov_b32 v9, v41 :: v_dual_add_nc_u32 v10, 0x150, v40
	v_lshlrev_b64_e32 v[6:7], 3, v[18:19]
	v_mov_b32_e32 v11, v41
	v_add_nc_u32_e32 v25, 0x800, v24
	v_add_co_u32 v12, vcc_lo, v28, v4
	v_lshlrev_b64_e32 v[8:9], 3, v[8:9]
	s_wait_alu 0xfffd
	v_add_co_ci_u32_e32 v13, vcc_lo, v29, v5, vcc_lo
	v_add_co_u32 v14, vcc_lo, v28, v6
	s_wait_alu 0xfffd
	v_add_co_ci_u32_e32 v15, vcc_lo, v29, v7, vcc_lo
	v_add_co_u32 v16, vcc_lo, v28, v8
	s_wait_alu 0xfffd
	v_add_co_ci_u32_e32 v17, vcc_lo, v29, v9, vcc_lo
	v_lshlrev_b64_e32 v[8:9], 3, v[10:11]
	v_add_nc_u32_e32 v10, 0x180, v40
	ds_load_2addr_b64 v[0:3], v24 offset0:192 offset1:240
	ds_load_2addr_b64 v[4:7], v25 offset0:32 offset1:80
	v_add_nc_u32_e32 v18, 0x1b0, v40
	v_add_nc_u32_e32 v40, 0x1e0, v40
	v_add_co_u32 v20, vcc_lo, v28, v8
	s_wait_alu 0xfffd
	v_add_co_ci_u32_e32 v21, vcc_lo, v29, v9, vcc_lo
	v_lshlrev_b64_e32 v[22:23], 3, v[10:11]
	ds_load_2addr_b64 v[8:11], v25 offset0:128 offset1:176
	ds_load_b64 v[24:25], v24 offset:3840
	v_lshlrev_b64_e32 v[18:19], 3, v[18:19]
	v_lshlrev_b64_e32 v[26:27], 3, v[40:41]
	v_add_co_u32 v22, vcc_lo, v28, v22
	s_wait_alu 0xfffd
	v_add_co_ci_u32_e32 v23, vcc_lo, v29, v23, vcc_lo
	s_delay_alu instid0(VALU_DEP_4)
	v_add_co_u32 v18, vcc_lo, v28, v18
	s_wait_alu 0xfffd
	v_add_co_ci_u32_e32 v19, vcc_lo, v29, v19, vcc_lo
	v_add_co_u32 v26, vcc_lo, v28, v26
	s_wait_alu 0xfffd
	v_add_co_ci_u32_e32 v27, vcc_lo, v29, v27, vcc_lo
	s_wait_dscnt 0x3
	s_clause 0x1
	global_store_b64 v[12:13], v[0:1], off
	global_store_b64 v[14:15], v[2:3], off
	s_wait_dscnt 0x2
	s_clause 0x1
	global_store_b64 v[16:17], v[4:5], off
	global_store_b64 v[20:21], v[6:7], off
	;; [unrolled: 4-line block ×3, first 2 shown]
	s_wait_dscnt 0x0
	global_store_b64 v[26:27], v[24:25], off
.LBB0_31:
	s_nop 0
	s_sendmsg sendmsg(MSG_DEALLOC_VGPRS)
	s_endpgm
	.section	.rodata,"a",@progbits
	.p2align	6, 0x0
	.amdhsa_kernel fft_rtc_fwd_len528_factors_4_4_3_11_wgs_48_tpt_48_halfLds_sp_ip_CI_unitstride_sbrr_C2R_dirReg
		.amdhsa_group_segment_fixed_size 0
		.amdhsa_private_segment_fixed_size 0
		.amdhsa_kernarg_size 88
		.amdhsa_user_sgpr_count 2
		.amdhsa_user_sgpr_dispatch_ptr 0
		.amdhsa_user_sgpr_queue_ptr 0
		.amdhsa_user_sgpr_kernarg_segment_ptr 1
		.amdhsa_user_sgpr_dispatch_id 0
		.amdhsa_user_sgpr_private_segment_size 0
		.amdhsa_wavefront_size32 1
		.amdhsa_uses_dynamic_stack 0
		.amdhsa_enable_private_segment 0
		.amdhsa_system_sgpr_workgroup_id_x 1
		.amdhsa_system_sgpr_workgroup_id_y 0
		.amdhsa_system_sgpr_workgroup_id_z 0
		.amdhsa_system_sgpr_workgroup_info 0
		.amdhsa_system_vgpr_workitem_id 0
		.amdhsa_next_free_vgpr 124
		.amdhsa_next_free_sgpr 32
		.amdhsa_reserve_vcc 1
		.amdhsa_float_round_mode_32 0
		.amdhsa_float_round_mode_16_64 0
		.amdhsa_float_denorm_mode_32 3
		.amdhsa_float_denorm_mode_16_64 3
		.amdhsa_fp16_overflow 0
		.amdhsa_workgroup_processor_mode 1
		.amdhsa_memory_ordered 1
		.amdhsa_forward_progress 0
		.amdhsa_round_robin_scheduling 0
		.amdhsa_exception_fp_ieee_invalid_op 0
		.amdhsa_exception_fp_denorm_src 0
		.amdhsa_exception_fp_ieee_div_zero 0
		.amdhsa_exception_fp_ieee_overflow 0
		.amdhsa_exception_fp_ieee_underflow 0
		.amdhsa_exception_fp_ieee_inexact 0
		.amdhsa_exception_int_div_zero 0
	.end_amdhsa_kernel
	.text
.Lfunc_end0:
	.size	fft_rtc_fwd_len528_factors_4_4_3_11_wgs_48_tpt_48_halfLds_sp_ip_CI_unitstride_sbrr_C2R_dirReg, .Lfunc_end0-fft_rtc_fwd_len528_factors_4_4_3_11_wgs_48_tpt_48_halfLds_sp_ip_CI_unitstride_sbrr_C2R_dirReg
                                        ; -- End function
	.section	.AMDGPU.csdata,"",@progbits
; Kernel info:
; codeLenInByte = 7980
; NumSgprs: 34
; NumVgprs: 124
; ScratchSize: 0
; MemoryBound: 0
; FloatMode: 240
; IeeeMode: 1
; LDSByteSize: 0 bytes/workgroup (compile time only)
; SGPRBlocks: 4
; VGPRBlocks: 15
; NumSGPRsForWavesPerEU: 34
; NumVGPRsForWavesPerEU: 124
; Occupancy: 10
; WaveLimiterHint : 1
; COMPUTE_PGM_RSRC2:SCRATCH_EN: 0
; COMPUTE_PGM_RSRC2:USER_SGPR: 2
; COMPUTE_PGM_RSRC2:TRAP_HANDLER: 0
; COMPUTE_PGM_RSRC2:TGID_X_EN: 1
; COMPUTE_PGM_RSRC2:TGID_Y_EN: 0
; COMPUTE_PGM_RSRC2:TGID_Z_EN: 0
; COMPUTE_PGM_RSRC2:TIDIG_COMP_CNT: 0
	.text
	.p2alignl 7, 3214868480
	.fill 96, 4, 3214868480
	.type	__hip_cuid_e8cb2d154f4d4d64,@object ; @__hip_cuid_e8cb2d154f4d4d64
	.section	.bss,"aw",@nobits
	.globl	__hip_cuid_e8cb2d154f4d4d64
__hip_cuid_e8cb2d154f4d4d64:
	.byte	0                               ; 0x0
	.size	__hip_cuid_e8cb2d154f4d4d64, 1

	.ident	"AMD clang version 19.0.0git (https://github.com/RadeonOpenCompute/llvm-project roc-6.4.0 25133 c7fe45cf4b819c5991fe208aaa96edf142730f1d)"
	.section	".note.GNU-stack","",@progbits
	.addrsig
	.addrsig_sym __hip_cuid_e8cb2d154f4d4d64
	.amdgpu_metadata
---
amdhsa.kernels:
  - .args:
      - .actual_access:  read_only
        .address_space:  global
        .offset:         0
        .size:           8
        .value_kind:     global_buffer
      - .offset:         8
        .size:           8
        .value_kind:     by_value
      - .actual_access:  read_only
        .address_space:  global
        .offset:         16
        .size:           8
        .value_kind:     global_buffer
      - .actual_access:  read_only
        .address_space:  global
        .offset:         24
        .size:           8
        .value_kind:     global_buffer
      - .offset:         32
        .size:           8
        .value_kind:     by_value
      - .actual_access:  read_only
        .address_space:  global
        .offset:         40
        .size:           8
        .value_kind:     global_buffer
      - .actual_access:  read_only
        .address_space:  global
        .offset:         48
        .size:           8
        .value_kind:     global_buffer
      - .offset:         56
        .size:           4
        .value_kind:     by_value
      - .actual_access:  read_only
        .address_space:  global
        .offset:         64
        .size:           8
        .value_kind:     global_buffer
      - .actual_access:  read_only
        .address_space:  global
        .offset:         72
        .size:           8
        .value_kind:     global_buffer
      - .address_space:  global
        .offset:         80
        .size:           8
        .value_kind:     global_buffer
    .group_segment_fixed_size: 0
    .kernarg_segment_align: 8
    .kernarg_segment_size: 88
    .language:       OpenCL C
    .language_version:
      - 2
      - 0
    .max_flat_workgroup_size: 48
    .name:           fft_rtc_fwd_len528_factors_4_4_3_11_wgs_48_tpt_48_halfLds_sp_ip_CI_unitstride_sbrr_C2R_dirReg
    .private_segment_fixed_size: 0
    .sgpr_count:     34
    .sgpr_spill_count: 0
    .symbol:         fft_rtc_fwd_len528_factors_4_4_3_11_wgs_48_tpt_48_halfLds_sp_ip_CI_unitstride_sbrr_C2R_dirReg.kd
    .uniform_work_group_size: 1
    .uses_dynamic_stack: false
    .vgpr_count:     124
    .vgpr_spill_count: 0
    .wavefront_size: 32
    .workgroup_processor_mode: 1
amdhsa.target:   amdgcn-amd-amdhsa--gfx1201
amdhsa.version:
  - 1
  - 2
...

	.end_amdgpu_metadata
